;; amdgpu-corpus repo=ROCm/rocFFT kind=compiled arch=gfx1030 opt=O3
	.text
	.amdgcn_target "amdgcn-amd-amdhsa--gfx1030"
	.amdhsa_code_object_version 6
	.protected	fft_rtc_back_len84_factors_6_2_7_wgs_252_tpt_7_halfLds_dim2_sp_ip_CI_sbcc_twdbase8_2step_dirReg ; -- Begin function fft_rtc_back_len84_factors_6_2_7_wgs_252_tpt_7_halfLds_dim2_sp_ip_CI_sbcc_twdbase8_2step_dirReg
	.globl	fft_rtc_back_len84_factors_6_2_7_wgs_252_tpt_7_halfLds_dim2_sp_ip_CI_sbcc_twdbase8_2step_dirReg
	.p2align	8
	.type	fft_rtc_back_len84_factors_6_2_7_wgs_252_tpt_7_halfLds_dim2_sp_ip_CI_sbcc_twdbase8_2step_dirReg,@function
fft_rtc_back_len84_factors_6_2_7_wgs_252_tpt_7_halfLds_dim2_sp_ip_CI_sbcc_twdbase8_2step_dirReg: ; @fft_rtc_back_len84_factors_6_2_7_wgs_252_tpt_7_halfLds_dim2_sp_ip_CI_sbcc_twdbase8_2step_dirReg
; %bb.0:
	s_load_dwordx4 s[0:3], s[4:5], 0x10
	s_mov_b64 s[20:21], 0
	s_waitcnt lgkmcnt(0)
	s_load_dwordx2 s[14:15], s[0:1], 0x8
	s_waitcnt lgkmcnt(0)
	s_add_u32 s0, s14, -1
	s_addc_u32 s1, s15, -1
	s_add_u32 s7, 0, 0x1c713f00
	s_addc_u32 s8, 0, 31
	s_mul_hi_u32 s10, s7, 0xffffffdc
	s_add_i32 s8, s8, 0x71c71a8
	s_sub_i32 s10, s10, s7
	s_mul_i32 s12, s8, 0xffffffdc
	s_mul_i32 s9, s7, 0xffffffdc
	s_add_i32 s10, s10, s12
	s_mul_hi_u32 s11, s7, s9
	s_mul_i32 s16, s7, s10
	s_mul_hi_u32 s12, s7, s10
	s_mul_hi_u32 s13, s8, s9
	s_mul_i32 s9, s8, s9
	s_add_u32 s11, s11, s16
	s_addc_u32 s12, 0, s12
	s_mul_hi_u32 s17, s8, s10
	s_add_u32 s9, s11, s9
	s_mul_i32 s10, s8, s10
	s_addc_u32 s9, s12, s13
	s_addc_u32 s11, s17, 0
	s_add_u32 s9, s9, s10
	v_add_co_u32 v1, s7, s7, s9
	s_addc_u32 s9, 0, s11
	s_cmp_lg_u32 s7, 0
	s_addc_u32 s7, s8, s9
	v_readfirstlane_b32 s8, v1
	s_mul_i32 s10, s0, s7
	s_mul_hi_u32 s9, s0, s7
	s_mul_hi_u32 s11, s1, s7
	s_mul_i32 s7, s1, s7
	s_mul_hi_u32 s12, s0, s8
	s_mul_hi_u32 s13, s1, s8
	s_mul_i32 s8, s1, s8
	s_add_u32 s10, s12, s10
	s_addc_u32 s9, 0, s9
	s_add_u32 s8, s10, s8
	s_addc_u32 s8, s9, s13
	s_addc_u32 s9, s11, 0
	s_add_u32 s8, s8, s7
	s_addc_u32 s9, 0, s9
	s_mul_i32 s10, s8, 36
	s_add_u32 s7, s8, 1
	v_sub_co_u32 v1, s0, s0, s10
	s_mul_hi_u32 s10, s8, 36
	s_addc_u32 s11, s9, 0
	s_mul_i32 s12, s9, 36
	v_sub_co_u32 v2, s13, v1, 36
	s_add_u32 s16, s8, 2
	s_addc_u32 s17, s9, 0
	s_add_i32 s10, s10, s12
	s_cmp_lg_u32 s0, 0
	v_readfirstlane_b32 s0, v2
	s_subb_u32 s1, s1, s10
	s_cmp_lg_u32 s13, 0
	s_load_dwordx2 s[12:13], s[2:3], 0x0
	s_subb_u32 s10, s1, 0
	s_cmp_gt_u32 s0, 35
	s_cselect_b32 s0, -1, 0
	s_cmp_eq_u32 s10, 0
	v_readfirstlane_b32 s10, v1
	s_cselect_b32 s0, s0, -1
	s_cmp_lg_u32 s0, 0
	s_cselect_b32 s0, s16, s7
	s_cselect_b32 s11, s17, s11
	s_cmp_gt_u32 s10, 35
	s_load_dwordx2 s[16:17], s[4:5], 0x50
	s_cselect_b32 s7, -1, 0
	s_cmp_eq_u32 s1, 0
	s_cselect_b32 s1, s7, -1
	s_mov_b32 s7, 0
	s_cmp_lg_u32 s1, 0
	s_cselect_b32 s0, s0, s8
	s_cselect_b32 s1, s11, s9
	s_add_u32 s0, s0, 1
	s_addc_u32 s1, s1, 0
	v_cmp_lt_u64_e64 s8, s[6:7], s[0:1]
	s_mov_b32 s7, -1
	s_and_b32 vcc_lo, exec_lo, s8
	s_cbranch_vccnz .LBB0_2
; %bb.1:
	v_cvt_f32_u32_e32 v1, s0
	s_sub_i32 s9, 0, s0
	v_rcp_iflag_f32_e32 v1, v1
	v_mul_f32_e32 v1, 0x4f7ffffe, v1
	v_cvt_u32_f32_e32 v1, v1
	v_readfirstlane_b32 s8, v1
	s_mul_i32 s9, s9, s8
	s_mul_hi_u32 s9, s8, s9
	s_add_i32 s8, s8, s9
	s_mul_hi_u32 s8, s6, s8
	s_mul_i32 s9, s8, s0
	s_add_i32 s10, s8, 1
	s_sub_i32 s9, s6, s9
	s_sub_i32 s11, s9, s0
	s_cmp_ge_u32 s9, s0
	s_cselect_b32 s8, s10, s8
	s_cselect_b32 s9, s11, s9
	s_add_i32 s10, s8, 1
	s_cmp_ge_u32 s9, s0
	s_cselect_b32 s20, s10, s8
.LBB0_2:
	s_load_dwordx4 s[8:11], s[2:3], 0x8
	v_mul_u32_u24_e32 v1, 0x71d, v0
	s_mul_i32 s1, s20, s1
	s_mul_hi_u32 s2, s20, s0
	s_mul_i32 s0, s20, s0
	s_add_i32 s2, s2, s1
	v_lshrrev_b32_e32 v68, 16, v1
	s_sub_u32 s0, s6, s0
	s_subb_u32 s1, 0, s2
	s_load_dwordx2 s[18:19], s[4:5], 0x0
	s_mul_hi_u32 s2, s0, 36
	v_mul_lo_u16 v1, v68, 36
	s_mul_i32 s1, s1, 36
	s_mul_i32 s6, s0, 36
	s_add_i32 s21, s2, s1
	v_add_nc_u32_e32 v30, 14, v68
	v_sub_nc_u16 v23, v0, v1
	v_add_nc_u32_e32 v31, 28, v68
	v_add_nc_u32_e32 v32, 7, v68
	;; [unrolled: 1-line block ×3, first 2 shown]
	s_waitcnt lgkmcnt(0)
	s_mul_i32 s1, s6, s9
	s_mul_hi_u32 s2, s6, s8
	s_mul_i32 s0, s21, s8
	s_mul_i32 s11, s11, s20
	s_mul_hi_u32 s22, s10, s20
	s_add_i32 s1, s2, s1
	s_mul_i32 s3, s6, s8
	s_mul_i32 s2, s10, s20
	s_add_i32 s1, s1, s0
	s_add_i32 s22, s22, s11
	s_add_u32 s2, s2, s3
	s_addc_u32 s3, s22, s1
	v_and_b32_e32 v69, 0xffff, v23
	s_add_u32 s0, s6, 36
	s_addc_u32 s1, s21, 0
	v_add_nc_u32_e32 v34, 35, v68
	v_cmp_gt_u64_e64 s10, s[0:1], s[14:15]
	v_add_co_u32 v24, s6, s6, v69
	v_cmp_le_u64_e64 s1, s[0:1], s[14:15]
	v_add_co_ci_u32_e64 v25, null, s21, 0, s6
	s_and_b32 vcc_lo, exec_lo, s10
	s_cbranch_vccnz .LBB0_4
; %bb.3:
	v_mad_u64_u32 v[1:2], null, s8, v69, 0
	v_mad_u64_u32 v[3:4], null, s12, v68, 0
	v_add_nc_u32_e32 v28, 14, v68
	v_add_nc_u32_e32 v29, 28, v68
	;; [unrolled: 1-line block ×3, first 2 shown]
	s_lshl_b64 s[6:7], s[2:3], 3
	v_or_b32_e32 v14, 56, v68
	s_add_u32 s0, s16, s6
	v_mad_u64_u32 v[5:6], null, s9, v69, v[2:3]
	v_mad_u64_u32 v[9:10], null, s12, v29, 0
	s_addc_u32 s6, s17, s7
	v_add_nc_u32_e32 v18, 0x46, v68
	v_add_nc_u32_e32 v70, 7, v68
	;; [unrolled: 1-line block ×3, first 2 shown]
	v_mad_u64_u32 v[6:7], null, s13, v68, v[4:5]
	v_mad_u64_u32 v[7:8], null, s12, v28, 0
	v_mov_b32_e32 v2, v5
	v_mad_u64_u32 v[16:17], null, s12, v70, 0
	v_add_nc_u32_e32 v36, 35, v68
	v_mov_b32_e32 v4, v6
	v_mov_b32_e32 v6, v10
	;; [unrolled: 1-line block ×3, first 2 shown]
	v_lshlrev_b64 v[1:2], 3, v[1:2]
	v_add_nc_u32_e32 v22, 49, v68
	v_lshlrev_b64 v[3:4], 3, v[3:4]
	v_add_nc_u32_e32 v45, 63, v68
	v_mad_u64_u32 v[10:11], null, s13, v28, v[5:6]
	v_mad_u64_u32 v[5:6], null, s13, v29, v[6:7]
	;; [unrolled: 1-line block ×3, first 2 shown]
	v_add_co_u32 v43, vcc_lo, s0, v1
	v_add_co_ci_u32_e32 v44, vcc_lo, s6, v2, vcc_lo
	v_mov_b32_e32 v8, v10
	v_add_co_u32 v1, vcc_lo, v43, v3
	v_add_co_ci_u32_e32 v2, vcc_lo, v44, v4, vcc_lo
	v_mov_b32_e32 v10, v5
	v_lshlrev_b64 v[4:5], 3, v[7:8]
	v_mov_b32_e32 v3, v12
	v_mad_u64_u32 v[37:38], null, s12, v45, 0
	v_mad_u64_u32 v[6:7], null, s13, v13, v[3:4]
	v_lshlrev_b64 v[7:8], 3, v[9:10]
	v_mad_u64_u32 v[9:10], null, s12, v14, 0
	v_add_co_u32 v3, vcc_lo, v43, v4
	v_add_co_ci_u32_e32 v4, vcc_lo, v44, v5, vcc_lo
	v_mov_b32_e32 v12, v6
	v_add_co_u32 v5, vcc_lo, v43, v7
	v_mov_b32_e32 v7, v10
	v_add_co_ci_u32_e32 v6, vcc_lo, v44, v8, vcc_lo
	v_lshlrev_b64 v[10:11], 3, v[11:12]
	v_mad_u64_u32 v[12:13], null, s12, v18, 0
	v_mad_u64_u32 v[7:8], null, s13, v14, v[7:8]
	v_add_co_u32 v14, vcc_lo, v43, v10
	v_add_co_ci_u32_e32 v15, vcc_lo, v44, v11, vcc_lo
	v_mov_b32_e32 v8, v13
	v_mov_b32_e32 v11, v17
	;; [unrolled: 1-line block ×3, first 2 shown]
	v_mad_u64_u32 v[18:19], null, s13, v18, v[8:9]
	s_clause 0x3
	global_load_dwordx2 v[1:2], v[1:2], off
	global_load_dwordx2 v[3:4], v[3:4], off
	;; [unrolled: 1-line block ×4, first 2 shown]
	v_mad_u64_u32 v[14:15], null, s13, v70, v[11:12]
	v_lshlrev_b64 v[9:10], 3, v[9:10]
	v_mov_b32_e32 v13, v18
	v_mad_u64_u32 v[18:19], null, s12, v35, 0
	v_mov_b32_e32 v17, v14
	v_mad_u64_u32 v[14:15], null, s12, v36, 0
	v_lshlrev_b64 v[11:12], 3, v[12:13]
	v_add_co_u32 v9, vcc_lo, v43, v9
	v_mov_b32_e32 v13, v19
	v_add_co_ci_u32_e32 v10, vcc_lo, v44, v10, vcc_lo
	v_add_co_u32 v11, vcc_lo, v43, v11
	v_mad_u64_u32 v[19:20], null, s13, v35, v[13:14]
	v_mad_u64_u32 v[20:21], null, s12, v22, 0
	v_mov_b32_e32 v13, v15
	v_lshlrev_b64 v[15:16], 3, v[16:17]
	v_add_co_ci_u32_e32 v12, vcc_lo, v44, v12, vcc_lo
	v_mad_u64_u32 v[26:27], null, s13, v36, v[13:14]
	v_add_nc_u32_e32 v27, 0x4d, v68
	v_mov_b32_e32 v13, v21
	v_add_co_u32 v41, vcc_lo, v43, v15
	v_add_co_ci_u32_e32 v42, vcc_lo, v44, v16, vcc_lo
	v_mad_u64_u32 v[39:40], null, s12, v27, 0
	v_mad_u64_u32 v[21:22], null, s13, v22, v[13:14]
	v_mov_b32_e32 v13, v38
	v_mov_b32_e32 v15, v26
	v_lshlrev_b64 v[16:17], 3, v[18:19]
	v_mad_u64_u32 v[18:19], null, s13, v45, v[13:14]
	v_lshlrev_b64 v[14:15], 3, v[14:15]
	v_mov_b32_e32 v13, v40
	v_add_co_u32 v16, vcc_lo, v43, v16
	v_lshlrev_b64 v[19:20], 3, v[20:21]
	v_add_co_ci_u32_e32 v17, vcc_lo, v44, v17, vcc_lo
	v_mad_u64_u32 v[26:27], null, s13, v27, v[13:14]
	v_mov_b32_e32 v38, v18
	v_add_co_u32 v13, vcc_lo, v43, v14
	v_add_co_ci_u32_e32 v14, vcc_lo, v44, v15, vcc_lo
	v_lshlrev_b64 v[21:22], 3, v[37:38]
	v_mov_b32_e32 v40, v26
	v_add_co_u32 v37, vcc_lo, v43, v19
	v_add_co_ci_u32_e32 v38, vcc_lo, v44, v20, vcc_lo
	v_lshlrev_b64 v[18:19], 3, v[39:40]
	v_add_co_u32 v39, vcc_lo, v43, v21
	v_add_co_ci_u32_e32 v40, vcc_lo, v44, v22, vcc_lo
	v_add_co_u32 v43, vcc_lo, v43, v18
	v_add_co_ci_u32_e32 v44, vcc_lo, v44, v19, vcc_lo
	s_clause 0x7
	global_load_dwordx2 v[26:27], v[9:10], off
	global_load_dwordx2 v[21:22], v[11:12], off
	;; [unrolled: 1-line block ×8, first 2 shown]
	s_cbranch_execz .LBB0_5
	s_branch .LBB0_10
.LBB0_4:
                                        ; implicit-def: $vgpr5
                                        ; implicit-def: $vgpr21
                                        ; implicit-def: $vgpr13
                                        ; implicit-def: $vgpr17
                                        ; implicit-def: $vgpr15
                                        ; implicit-def: $vgpr19
                                        ; implicit-def: $vgpr11
                                        ; implicit-def: $vgpr9
                                        ; implicit-def: $vgpr26
                                        ; implicit-def: $vgpr7
                                        ; implicit-def: $vgpr3
                                        ; implicit-def: $vgpr1
                                        ; implicit-def: $vgpr70
                                        ; implicit-def: $vgpr28
                                        ; implicit-def: $vgpr35
                                        ; implicit-def: $vgpr29
                                        ; implicit-def: $vgpr36
	s_andn2_b32 vcc_lo, exec_lo, s7
	s_cbranch_vccnz .LBB0_10
.LBB0_5:
	s_mov_b32 s0, exec_lo
                                        ; implicit-def: $vgpr70
                                        ; implicit-def: $vgpr28
                                        ; implicit-def: $vgpr35
                                        ; implicit-def: $vgpr29
                                        ; implicit-def: $vgpr36
	v_cmpx_le_u64_e64 s[14:15], v[24:25]
	s_xor_b32 s0, exec_lo, s0
; %bb.6:
	v_add_nc_u32_e32 v70, 7, v68
	v_add_nc_u32_e32 v28, 14, v68
	;; [unrolled: 1-line block ×5, first 2 shown]
                                        ; implicit-def: $vgpr30
                                        ; implicit-def: $vgpr31
                                        ; implicit-def: $vgpr32
                                        ; implicit-def: $vgpr33
                                        ; implicit-def: $vgpr34
; %bb.7:
	s_or_saveexec_b32 s0, s0
                                        ; implicit-def: $vgpr5
                                        ; implicit-def: $vgpr21
                                        ; implicit-def: $vgpr13
                                        ; implicit-def: $vgpr17
                                        ; implicit-def: $vgpr15
                                        ; implicit-def: $vgpr19
                                        ; implicit-def: $vgpr11
                                        ; implicit-def: $vgpr9
                                        ; implicit-def: $vgpr26
                                        ; implicit-def: $vgpr7
                                        ; implicit-def: $vgpr3
                                        ; implicit-def: $vgpr1
	s_xor_b32 exec_lo, exec_lo, s0
	s_cbranch_execz .LBB0_9
; %bb.8:
	s_waitcnt vmcnt(11)
	v_mad_u64_u32 v[1:2], null, s8, v69, 0
	s_waitcnt vmcnt(10)
	v_mad_u64_u32 v[3:4], null, s12, v68, 0
	;; [unrolled: 2-line block ×3, first 2 shown]
	s_waitcnt vmcnt(2)
	v_add_nc_u32_e32 v15, 42, v68
	s_lshl_b64 s[6:7], s[2:3], 3
	v_or_b32_e32 v16, 56, v68
	s_add_u32 s6, s16, s6
	v_mad_u64_u32 v[7:8], null, s9, v69, v[2:3]
	v_mad_u64_u32 v[8:9], null, s12, v31, 0
	;; [unrolled: 1-line block ×3, first 2 shown]
	s_addc_u32 s7, s17, s7
	v_mad_u64_u32 v[11:12], null, s12, v15, 0
	v_mov_b32_e32 v2, v7
	v_mov_b32_e32 v7, v9
	s_waitcnt vmcnt(1)
	v_add_nc_u32_e32 v17, 0x46, v68
	v_mov_b32_e32 v4, v10
	v_add_nc_u32_e32 v22, 49, v68
	v_lshlrev_b64 v[1:2], 3, v[1:2]
	v_mad_u64_u32 v[9:10], null, s13, v30, v[6:7]
	v_lshlrev_b64 v[3:4], 3, v[3:4]
	s_waitcnt vmcnt(0)
	v_mad_u64_u32 v[13:14], null, s13, v31, v[7:8]
	v_add_co_u32 v41, vcc_lo, s6, v1
	v_add_co_ci_u32_e32 v42, vcc_lo, s7, v2, vcc_lo
	v_mov_b32_e32 v6, v9
	v_add_co_u32 v1, vcc_lo, v41, v3
	v_add_co_ci_u32_e32 v2, vcc_lo, v42, v4, vcc_lo
	v_lshlrev_b64 v[4:5], 3, v[5:6]
	v_mov_b32_e32 v3, v12
	v_mov_b32_e32 v9, v13
	v_mad_u64_u32 v[13:14], null, s12, v16, 0
	v_mad_u64_u32 v[20:21], null, s12, v34, 0
	;; [unrolled: 1-line block ×3, first 2 shown]
	v_lshlrev_b64 v[7:8], 3, v[8:9]
	v_add_co_u32 v3, vcc_lo, v41, v4
	v_add_co_ci_u32_e32 v4, vcc_lo, v42, v5, vcc_lo
	v_mov_b32_e32 v5, v14
	v_mov_b32_e32 v12, v6
	v_add_co_u32 v6, vcc_lo, v41, v7
	v_mad_u64_u32 v[9:10], null, s12, v17, 0
	v_lshlrev_b64 v[11:12], 3, v[11:12]
	v_mad_u64_u32 v[14:15], null, s13, v16, v[5:6]
	v_mad_u64_u32 v[15:16], null, s12, v32, 0
	v_add_co_ci_u32_e32 v7, vcc_lo, v42, v8, vcc_lo
	v_mov_b32_e32 v5, v10
	v_add_co_u32 v10, vcc_lo, v41, v11
	v_lshlrev_b64 v[13:14], 3, v[13:14]
	v_add_co_ci_u32_e32 v11, vcc_lo, v42, v12, vcc_lo
	v_mov_b32_e32 v12, v16
	v_mad_u64_u32 v[17:18], null, s13, v17, v[5:6]
	s_clause 0x3
	global_load_dwordx2 v[1:2], v[1:2], off
	global_load_dwordx2 v[3:4], v[3:4], off
	;; [unrolled: 1-line block ×4, first 2 shown]
	v_mad_u64_u32 v[18:19], null, s12, v33, 0
	v_mad_u64_u32 v[11:12], null, s13, v32, v[12:13]
	v_add_co_u32 v12, vcc_lo, v41, v13
	v_mov_b32_e32 v10, v17
	v_add_nc_u32_e32 v43, 0x4d, v68
	v_add_co_ci_u32_e32 v13, vcc_lo, v42, v14, vcc_lo
	v_mov_b32_e32 v16, v11
	v_mov_b32_e32 v11, v19
	v_lshlrev_b64 v[9:10], 3, v[9:10]
	v_mad_u64_u32 v[37:38], null, s12, v43, 0
	v_lshlrev_b64 v[14:15], 3, v[15:16]
	v_mad_u64_u32 v[26:27], null, s13, v33, v[11:12]
	v_mad_u64_u32 v[27:28], null, s12, v22, 0
	v_mov_b32_e32 v11, v21
	v_add_co_u32 v9, vcc_lo, v41, v9
	v_add_co_ci_u32_e32 v10, vcc_lo, v42, v10, vcc_lo
	v_mov_b32_e32 v19, v26
	v_add_nc_u32_e32 v26, 63, v68
	v_mad_u64_u32 v[16:17], null, s13, v34, v[11:12]
	v_mov_b32_e32 v11, v28
	v_lshlrev_b64 v[17:18], 3, v[18:19]
	v_mad_u64_u32 v[35:36], null, s12, v26, 0
	v_add_co_u32 v14, vcc_lo, v41, v14
	v_mad_u64_u32 v[28:29], null, s13, v22, v[11:12]
	v_mov_b32_e32 v21, v16
	v_add_co_ci_u32_e32 v15, vcc_lo, v42, v15, vcc_lo
	v_mov_b32_e32 v11, v36
	v_add_co_u32 v16, vcc_lo, v41, v17
	v_add_co_ci_u32_e32 v17, vcc_lo, v42, v18, vcc_lo
	v_mad_u64_u32 v[39:40], null, s13, v26, v[11:12]
	v_mov_b32_e32 v11, v38
	v_lshlrev_b64 v[18:19], 3, v[20:21]
	v_mov_b32_e32 v70, v32
	v_mad_u64_u32 v[20:21], null, s13, v43, v[11:12]
	v_mov_b32_e32 v36, v39
	v_lshlrev_b64 v[21:22], 3, v[27:28]
	v_add_co_u32 v18, vcc_lo, v41, v18
	v_add_co_ci_u32_e32 v19, vcc_lo, v42, v19, vcc_lo
	v_mov_b32_e32 v38, v20
	v_lshlrev_b64 v[26:27], 3, v[35:36]
	v_add_co_u32 v28, vcc_lo, v41, v21
	v_add_co_ci_u32_e32 v29, vcc_lo, v42, v22, vcc_lo
	v_lshlrev_b64 v[20:21], 3, v[37:38]
	v_add_co_u32 v35, vcc_lo, v41, v26
	v_add_co_ci_u32_e32 v36, vcc_lo, v42, v27, vcc_lo
	v_add_co_u32 v37, vcc_lo, v41, v20
	v_add_co_ci_u32_e32 v38, vcc_lo, v42, v21, vcc_lo
	s_clause 0x7
	global_load_dwordx2 v[26:27], v[12:13], off
	global_load_dwordx2 v[21:22], v[9:10], off
	;; [unrolled: 1-line block ×8, first 2 shown]
	v_mov_b32_e32 v28, v30
	v_mov_b32_e32 v35, v33
	;; [unrolled: 1-line block ×4, first 2 shown]
.LBB0_9:
	s_or_b32 exec_lo, exec_lo, s0
.LBB0_10:
	s_waitcnt vmcnt(7)
	v_add_f32_e32 v30, v7, v26
	v_add_f32_e32 v31, v1, v7
	v_sub_f32_e32 v32, v8, v27
	v_add_f32_e32 v33, v8, v27
	v_sub_f32_e32 v7, v7, v26
	v_fmac_f32_e32 v1, -0.5, v30
	v_add_f32_e32 v26, v31, v26
	s_waitcnt vmcnt(6)
	v_add_f32_e32 v31, v22, v6
	v_add_f32_e32 v8, v2, v8
	v_fmac_f32_e32 v2, -0.5, v33
	v_fmamk_f32 v30, v32, 0xbf5db3d7, v1
	v_fmac_f32_e32 v1, 0x3f5db3d7, v32
	v_add_f32_e32 v32, v21, v5
	v_add_f32_e32 v33, v4, v6
	v_fmac_f32_e32 v4, -0.5, v31
	v_sub_f32_e32 v31, v5, v21
	v_add_f32_e32 v8, v8, v27
	v_fmamk_f32 v27, v7, 0x3f5db3d7, v2
	v_add_f32_e32 v5, v3, v5
	v_fmac_f32_e32 v3, -0.5, v32
	v_sub_f32_e32 v6, v6, v22
	v_fmac_f32_e32 v2, 0xbf5db3d7, v7
	v_fmamk_f32 v7, v31, 0x3f5db3d7, v4
	v_fmac_f32_e32 v4, 0xbf5db3d7, v31
	v_add_f32_e32 v5, v21, v5
	v_fmamk_f32 v21, v6, 0xbf5db3d7, v3
	v_fmac_f32_e32 v3, 0x3f5db3d7, v6
	v_mul_f32_e32 v6, 0xbf5db3d7, v7
	v_mul_f32_e32 v31, 0xbf5db3d7, v4
	v_mul_f32_e32 v4, -0.5, v4
	v_add_f32_e32 v22, v22, v33
	v_mul_f32_e32 v32, 0x3f5db3d7, v21
	v_fmac_f32_e32 v6, 0.5, v21
	v_add_f32_e32 v21, v26, v5
	v_fmac_f32_e32 v4, 0x3f5db3d7, v3
	v_sub_f32_e32 v5, v26, v5
	s_waitcnt vmcnt(1)
	v_add_f32_e32 v26, v19, v17
	v_fmac_f32_e32 v31, -0.5, v3
	v_add_f32_e32 v3, v30, v6
	v_add_f32_e32 v34, v8, v22
	;; [unrolled: 1-line block ×3, first 2 shown]
	v_sub_f32_e32 v6, v30, v6
	v_sub_f32_e32 v8, v8, v22
	v_add_f32_e32 v22, v9, v19
	v_fmac_f32_e32 v9, -0.5, v26
	v_sub_f32_e32 v26, v20, v18
	v_sub_f32_e32 v30, v2, v4
	v_add_f32_e32 v4, v10, v20
	v_add_f32_e32 v2, v22, v17
	;; [unrolled: 1-line block ×3, first 2 shown]
	v_fmamk_f32 v22, v26, 0xbf5db3d7, v9
	v_fmac_f32_e32 v9, 0x3f5db3d7, v26
	s_waitcnt vmcnt(0)
	v_add_f32_e32 v26, v16, v14
	v_add_f32_e32 v4, v4, v18
	;; [unrolled: 1-line block ×3, first 2 shown]
	v_fmac_f32_e32 v10, -0.5, v20
	v_add_f32_e32 v20, v12, v16
	v_fmac_f32_e32 v12, -0.5, v26
	v_sub_f32_e32 v26, v15, v13
	v_sub_f32_e32 v17, v19, v17
	v_add_f32_e32 v15, v11, v15
	v_fmac_f32_e32 v11, -0.5, v18
	v_sub_f32_e32 v16, v16, v14
	v_fmamk_f32 v18, v26, 0x3f5db3d7, v12
	v_fmamk_f32 v19, v17, 0x3f5db3d7, v10
	v_fmac_f32_e32 v10, 0xbf5db3d7, v17
	v_fmac_f32_e32 v12, 0xbf5db3d7, v26
	v_fmamk_f32 v17, v16, 0xbf5db3d7, v11
	v_fmac_f32_e32 v11, 0x3f5db3d7, v16
	v_mul_f32_e32 v26, 0xbf5db3d7, v18
	v_add_f32_e32 v13, v15, v13
	v_mul_f32_e32 v15, 0xbf5db3d7, v12
	v_mul_f32_e32 v16, 0x3f5db3d7, v17
	v_mul_u32_u24_e32 v33, 0x360, v68
	v_mul_f32_e32 v12, -0.5, v12
	v_fmac_f32_e32 v32, 0.5, v7
	v_fmac_f32_e32 v15, -0.5, v11
	v_fmac_f32_e32 v16, 0.5, v18
	v_mov_b32_e32 v18, 2
	v_add_f32_e32 v7, v1, v31
	v_fmac_f32_e32 v26, 0.5, v17
	v_fmac_f32_e32 v12, 0x3f5db3d7, v11
	v_add_f32_e32 v11, v9, v15
	v_lshlrev_b32_sdwa v47, v18, v23 dst_sel:DWORD dst_unused:UNUSED_PAD src0_sel:DWORD src1_sel:WORD_0
	v_sub_f32_e32 v9, v9, v15
	v_mul_i32_i24_e32 v15, 0x360, v70
	v_add_f32_e32 v14, v20, v14
	v_sub_f32_e32 v1, v1, v31
	v_add3_u32 v18, 0, v33, v47
	ds_write2_b32 v18, v21, v3 offset1:36
	ds_write2_b32 v18, v7, v5 offset0:72 offset1:108
	v_mul_i32_i24_e32 v3, 0x90, v28
	v_mad_i32_i24 v23, 0xfffffd30, v68, v18
	v_add_f32_e32 v17, v2, v13
	v_add_f32_e32 v20, v22, v26
	;; [unrolled: 1-line block ×3, first 2 shown]
	v_sub_f32_e32 v10, v10, v12
	v_add3_u32 v12, 0, v15, v47
	v_sub_f32_e32 v2, v2, v13
	v_sub_f32_e32 v13, v22, v26
	v_add3_u32 v40, 0, v3, v47
	v_mul_i32_i24_e32 v3, 0x90, v35
	v_add_f32_e32 v31, v4, v14
	v_sub_f32_e32 v14, v4, v14
	v_mul_i32_i24_e32 v4, 0x90, v29
	v_add_f32_e32 v37, v27, v32
	v_sub_f32_e32 v27, v27, v32
	v_add_f32_e32 v32, v19, v16
	v_sub_f32_e32 v16, v19, v16
	ds_write2_b32 v18, v6, v1 offset0:144 offset1:180
	ds_write2_b32 v12, v17, v20 offset1:36
	ds_write2_b32 v12, v11, v2 offset0:72 offset1:108
	ds_write2_b32 v12, v13, v9 offset0:144 offset1:180
	v_add_nc_u32_e32 v19, 0x17a0, v23
	v_add_nc_u32_e32 v20, 0x1f80, v23
	;; [unrolled: 1-line block ×3, first 2 shown]
	v_mul_i32_i24_e32 v7, 0x90, v36
	v_mad_i32_i24 v33, 0xfffffd30, v70, v12
	v_add3_u32 v43, 0, v3, v47
	v_add3_u32 v44, 0, v4, v47
	s_waitcnt lgkmcnt(0)
	s_barrier
	buffer_gl0_inv
	ds_read2_b32 v[1:2], v19 offset1:252
	ds_read2_b32 v[5:6], v20 offset1:252
	ds_read2_b32 v[3:4], v41 offset1:252
	v_add3_u32 v45, 0, v7, v47
	ds_read_b32 v48, v23
	ds_read_b32 v49, v33
	;; [unrolled: 1-line block ×6, first 2 shown]
	s_waitcnt lgkmcnt(0)
	s_barrier
	buffer_gl0_inv
	ds_write2_b32 v18, v34, v37 offset1:36
	ds_write2_b32 v18, v38, v8 offset0:72 offset1:108
	ds_write2_b32 v18, v27, v30 offset0:144 offset1:180
	ds_write2_b32 v12, v31, v32 offset1:36
	ds_write2_b32 v12, v39, v14 offset0:72 offset1:108
	v_and_b32_e32 v8, 0xff, v70
	v_and_b32_e32 v9, 0xff, v28
	ds_write2_b32 v12, v16, v10 offset0:144 offset1:180
	v_and_b32_e32 v10, 0xff, v35
	v_and_b32_e32 v11, 0xff, v29
	;; [unrolled: 1-line block ×3, first 2 shown]
	v_mul_lo_u16 v7, v68, 43
	v_mul_lo_u16 v31, 0xab, v8
	;; [unrolled: 1-line block ×6, first 2 shown]
	v_lshrrev_b16 v21, 8, v7
	v_lshrrev_b16 v26, 10, v31
	;; [unrolled: 1-line block ×6, first 2 shown]
	v_mul_lo_u16 v7, v21, 6
	v_mul_lo_u16 v8, v26, 6
	;; [unrolled: 1-line block ×6, first 2 shown]
	v_sub_nc_u16 v22, v68, v7
	v_mov_b32_e32 v7, 3
	v_sub_nc_u16 v8, v70, v8
	v_sub_nc_u16 v9, v28, v9
	;; [unrolled: 1-line block ×5, first 2 shown]
	v_lshlrev_b32_sdwa v7, v7, v22 dst_sel:DWORD dst_unused:UNUSED_PAD src0_sel:DWORD src1_sel:BYTE_0
	v_and_b32_e32 v28, 0xff, v8
	v_and_b32_e32 v29, 0xff, v9
	;; [unrolled: 1-line block ×5, first 2 shown]
	s_waitcnt lgkmcnt(0)
	s_barrier
	buffer_gl0_inv
	global_load_dwordx2 v[7:8], v7, s[18:19]
	v_lshlrev_b32_e32 v9, 3, v28
	v_lshlrev_b32_e32 v10, 3, v29
	;; [unrolled: 1-line block ×5, first 2 shown]
	s_clause 0x4
	global_load_dwordx2 v[13:14], v9, s[18:19]
	global_load_dwordx2 v[15:16], v10, s[18:19]
	;; [unrolled: 1-line block ×5, first 2 shown]
	v_mov_b32_e32 v35, 0x90
	v_mad_u16 v21, v21, 12, v22
	v_and_b32_e32 v46, 0xffff, v26
	v_and_b32_e32 v54, 0xffff, v27
	;; [unrolled: 1-line block ×5, first 2 shown]
	v_mul_u32_u24_sdwa v30, v21, v35 dst_sel:DWORD dst_unused:UNUSED_PAD src0_sel:BYTE_0 src1_sel:DWORD
	ds_read2_b32 v[26:27], v19 offset1:252
	ds_read2_b32 v[21:22], v20 offset1:252
	ds_read2_b32 v[19:20], v41 offset1:252
	ds_read_b32 v42, v23
	ds_read_b32 v34, v33
	;; [unrolled: 1-line block ×6, first 2 shown]
	v_mad_u32_u24 v28, v46, 12, v28
	v_mad_u32_u24 v29, v54, 12, v29
	;; [unrolled: 1-line block ×5, first 2 shown]
	v_mul_u32_u24_e32 v28, 0x90, v28
	v_mul_u32_u24_e32 v29, 0x90, v29
	;; [unrolled: 1-line block ×5, first 2 shown]
	v_add3_u32 v43, 0, v28, v47
	v_add3_u32 v44, 0, v29, v47
	;; [unrolled: 1-line block ×6, first 2 shown]
	s_waitcnt vmcnt(0) lgkmcnt(0)
	s_barrier
	buffer_gl0_inv
	v_cmp_gt_u32_e64 s0, 0xb4, v0
                                        ; implicit-def: $vgpr77
                                        ; implicit-def: $vgpr75
	v_mul_f32_e32 v28, v26, v8
	v_mul_f32_e32 v29, v27, v14
	;; [unrolled: 1-line block ×5, first 2 shown]
	v_fmac_f32_e32 v28, v1, v7
	v_mul_f32_e32 v38, v20, v12
	v_fmac_f32_e32 v29, v2, v13
	v_fmac_f32_e32 v32, v5, v15
	;; [unrolled: 1-line block ×4, first 2 shown]
	v_sub_f32_e32 v28, v48, v28
	v_fmac_f32_e32 v38, v4, v11
	v_sub_f32_e32 v29, v49, v29
	v_sub_f32_e32 v32, v50, v32
	;; [unrolled: 1-line block ×4, first 2 shown]
	v_fma_f32 v48, v48, 2.0, -v28
	v_sub_f32_e32 v72, v53, v38
	v_fma_f32 v36, v49, 2.0, -v29
	v_fma_f32 v37, v50, 2.0, -v32
	v_fma_f32 v38, v51, 2.0, -v71
	v_fma_f32 v76, v52, 2.0, -v73
	v_fma_f32 v74, v53, 2.0, -v72
	ds_write2_b32 v30, v48, v28 offset1:216
	ds_write2_b32 v43, v36, v29 offset1:216
	;; [unrolled: 1-line block ×6, first 2 shown]
	s_waitcnt lgkmcnt(0)
	s_barrier
	buffer_gl0_inv
	ds_read_b32 v87, v23
	ds_read_b32 v29, v23 offset:1728
	ds_read_b32 v28, v23 offset:3456
	;; [unrolled: 1-line block ×6, first 2 shown]
	s_and_saveexec_b32 s6, s0
	s_cbranch_execz .LBB0_12
; %bb.11:
	ds_read_b32 v76, v23 offset:2736
	ds_read_b32 v73, v23 offset:4464
	ds_read_b32 v74, v23 offset:6192
	ds_read_b32 v72, v23 offset:7920
	ds_read_b32 v75, v23 offset:9648
	ds_read_b32 v71, v33
	ds_read_b32 v77, v23 offset:11376
.LBB0_12:
	s_or_b32 exec_lo, exec_lo, s6
	v_mul_f32_e32 v0, v1, v8
	v_mul_f32_e32 v1, v2, v14
	;; [unrolled: 1-line block ×5, first 2 shown]
	v_fma_f32 v0, v26, v7, -v0
	v_mul_f32_e32 v4, v4, v12
	v_fma_f32 v1, v27, v13, -v1
	v_fma_f32 v2, v21, v15, -v2
	;; [unrolled: 1-line block ×4, first 2 shown]
	v_sub_f32_e32 v0, v42, v0
	v_fma_f32 v4, v20, v11, -v4
	v_sub_f32_e32 v1, v34, v1
	v_sub_f32_e32 v2, v35, v2
	;; [unrolled: 1-line block ×4, first 2 shown]
	v_fma_f32 v6, v42, 2.0, -v0
	v_sub_f32_e32 v79, v41, v4
	v_fma_f32 v3, v34, 2.0, -v1
	v_fma_f32 v4, v35, 2.0, -v2
	;; [unrolled: 1-line block ×5, first 2 shown]
	s_waitcnt lgkmcnt(0)
	s_barrier
	buffer_gl0_inv
	ds_write2_b32 v30, v6, v0 offset1:216
	ds_write2_b32 v43, v3, v1 offset1:216
	;; [unrolled: 1-line block ×6, first 2 shown]
	s_waitcnt lgkmcnt(0)
	s_barrier
	buffer_gl0_inv
	ds_read_b32 v93, v23
	ds_read_b32 v30, v23 offset:1728
	ds_read_b32 v27, v23 offset:3456
	ds_read_b32 v26, v23 offset:5184
	ds_read_b32 v41, v23 offset:6912
	ds_read_b32 v40, v23 offset:8640
	ds_read_b32 v39, v23 offset:10368
                                        ; implicit-def: $vgpr84
                                        ; implicit-def: $vgpr82
	s_and_saveexec_b32 s6, s0
	s_cbranch_execz .LBB0_14
; %bb.13:
	ds_read_b32 v83, v23 offset:2736
	ds_read_b32 v80, v23 offset:4464
	ds_read_b32 v81, v23 offset:6192
	ds_read_b32 v79, v23 offset:7920
	ds_read_b32 v82, v23 offset:9648
	ds_read_b32 v78, v33
	ds_read_b32 v84, v23 offset:11376
.LBB0_14:
	s_or_b32 exec_lo, exec_lo, s6
	v_and_b32_e32 v85, 0xffff, v68
	s_load_dwordx2 s[4:5], s[4:5], 0x8
	v_mov_b32_e32 v33, 3
	s_andn2_b32 vcc_lo, exec_lo, s1
	v_mul_u32_u24_e32 v0, 6, v85
	v_mul_lo_u32 v1, v24, v85
	v_add_nc_u32_e32 v86, 12, v85
	v_or_b32_e32 v92, 24, v85
	v_add_nc_u32_e32 v91, 36, v85
	v_lshlrev_b32_e32 v0, 3, v0
	v_or_b32_e32 v89, 48, v85
	v_mul_lo_u32 v2, v24, v86
	v_add_nc_u32_e32 v88, 60, v85
	v_bfe_u32 v3, v1, 8, 8
	s_clause 0x2
	global_load_dwordx4 v[16:19], v0, s[18:19] offset:48
	global_load_dwordx4 v[4:7], v0, s[18:19] offset:64
	;; [unrolled: 1-line block ×3, first 2 shown]
	v_lshlrev_b32_sdwa v0, v33, v1 dst_sel:DWORD dst_unused:UNUSED_PAD src0_sel:DWORD src1_sel:BYTE_0
	v_or_b32_e32 v90, 0x48, v85
	v_lshl_or_b32 v1, v3, 3, 0x800
	v_bfe_u32 v3, v2, 8, 8
	s_waitcnt lgkmcnt(0)
	s_clause 0x1
	global_load_dwordx2 v[34:35], v0, s[4:5]
	global_load_dwordx2 v[42:43], v1, s[4:5]
	v_lshlrev_b32_sdwa v0, v33, v2 dst_sel:DWORD dst_unused:UNUSED_PAD src0_sel:DWORD src1_sel:BYTE_0
	v_lshl_or_b32 v1, v3, 3, 0x800
	v_mul_lo_u32 v2, v24, v89
	s_clause 0x1
	global_load_dwordx2 v[44:45], v0, s[4:5]
	global_load_dwordx2 v[46:47], v1, s[4:5]
	v_mul_lo_u32 v0, v24, v92
	v_mul_lo_u32 v1, v24, v91
	;; [unrolled: 1-line block ×4, first 2 shown]
	v_bfe_u32 v11, v2, 8, 8
	v_lshlrev_b32_sdwa v2, v33, v2 dst_sel:DWORD dst_unused:UNUSED_PAD src0_sel:DWORD src1_sel:BYTE_0
	v_lshlrev_b32_sdwa v9, v33, v0 dst_sel:DWORD dst_unused:UNUSED_PAD src0_sel:DWORD src1_sel:BYTE_0
	v_bfe_u32 v0, v0, 8, 8
	v_lshlrev_b32_sdwa v10, v33, v1 dst_sel:DWORD dst_unused:UNUSED_PAD src0_sel:DWORD src1_sel:BYTE_0
	v_bfe_u32 v1, v1, 8, 8
	v_bfe_u32 v12, v3, 8, 8
	;; [unrolled: 1-line block ×3, first 2 shown]
	v_lshl_or_b32 v0, v0, 3, 0x800
	s_clause 0x1
	global_load_dwordx2 v[56:57], v9, s[4:5]
	global_load_dwordx2 v[60:61], v0, s[4:5]
	v_lshl_or_b32 v1, v1, 3, 0x800
	v_lshlrev_b32_sdwa v0, v33, v8 dst_sel:DWORD dst_unused:UNUSED_PAD src0_sel:DWORD src1_sel:BYTE_0
	v_lshl_or_b32 v8, v11, 3, 0x800
	v_lshlrev_b32_sdwa v3, v33, v3 dst_sel:DWORD dst_unused:UNUSED_PAD src0_sel:DWORD src1_sel:BYTE_0
	s_clause 0x1
	global_load_dwordx2 v[64:65], v10, s[4:5]
	global_load_dwordx2 v[66:67], v1, s[4:5]
	v_lshl_or_b32 v1, v12, 3, 0x800
	v_lshl_or_b32 v9, v13, 3, 0x800
	s_clause 0x5
	global_load_dwordx2 v[58:59], v2, s[4:5]
	global_load_dwordx2 v[62:63], v8, s[4:5]
	;; [unrolled: 1-line block ×6, first 2 shown]
	v_lshrrev_b16 v0, 11, v31
	v_mul_lo_u16 v0, v0, 12
	v_sub_nc_u16 v0, v70, v0
	v_and_b32_e32 v0, 0xff, v0
	v_add_nc_u32_e32 v8, 24, v0
	v_add_nc_u32_e32 v9, 36, v0
	v_or_b32_e32 v10, 48, v0
	v_mul_lo_u32 v2, v24, v0
	v_mul_u32_u24_e32 v1, 6, v0
	v_add_nc_u32_e32 v3, 12, v0
	v_add_nc_u32_e32 v11, 60, v0
	;; [unrolled: 1-line block ×3, first 2 shown]
	v_mul_lo_u32 v94, v24, v8
	v_mul_lo_u32 v95, v24, v9
	;; [unrolled: 1-line block ×3, first 2 shown]
	v_bfe_u32 v99, v2, 8, 8
	v_mul_lo_u32 v31, v24, v3
	v_mul_lo_u32 v97, v24, v11
	;; [unrolled: 1-line block ×3, first 2 shown]
	v_lshlrev_b32_e32 v12, 3, v1
	v_lshlrev_b32_sdwa v100, v33, v2 dst_sel:DWORD dst_unused:UNUSED_PAD src0_sel:DWORD src1_sel:BYTE_0
	v_lshlrev_b32_sdwa v103, v33, v94 dst_sel:DWORD dst_unused:UNUSED_PAD src0_sel:DWORD src1_sel:BYTE_0
	v_bfe_u32 v94, v94, 8, 8
	v_lshlrev_b32_sdwa v105, v33, v95 dst_sel:DWORD dst_unused:UNUSED_PAD src0_sel:DWORD src1_sel:BYTE_0
	v_bfe_u32 v95, v95, 8, 8
	;; [unrolled: 2-line block ×3, first 2 shown]
	v_lshl_or_b32 v99, v99, 3, 0x800
	s_clause 0x2
	global_load_dwordx4 v[0:3], v12, s[18:19] offset:48
	global_load_dwordx4 v[8:11], v12, s[18:19] offset:80
	;; [unrolled: 1-line block ×3, first 2 shown]
	v_lshlrev_b32_sdwa v101, v33, v31 dst_sel:DWORD dst_unused:UNUSED_PAD src0_sel:DWORD src1_sel:BYTE_0
	v_bfe_u32 v102, v31, 8, 8
	s_waitcnt vmcnt(19)
	v_mul_f32_e32 v104, v30, v17
	v_mul_f32_e32 v17, v29, v17
	;; [unrolled: 1-line block ×3, first 2 shown]
	s_waitcnt vmcnt(17)
	v_mul_f32_e32 v109, v39, v23
	v_fmac_f32_e32 v104, v29, v16
	v_fma_f32 v108, v30, v16, -v17
	v_mul_f32_e32 v16, v28, v19
	v_fmac_f32_e32 v106, v28, v18
	v_lshlrev_b32_sdwa v17, v33, v97 dst_sel:DWORD dst_unused:UNUSED_PAD src0_sel:DWORD src1_sel:BYTE_0
	v_bfe_u32 v19, v97, 8, 8
	v_lshlrev_b32_sdwa v97, v33, v98 dst_sel:DWORD dst_unused:UNUSED_PAD src0_sel:DWORD src1_sel:BYTE_0
	v_bfe_u32 v33, v98, 8, 8
	v_fma_f32 v98, v27, v18, -v16
	s_clause 0x1
	global_load_dwordx2 v[28:29], v100, s[4:5]
	global_load_dwordx2 v[30:31], v99, s[4:5]
	v_lshl_or_b32 v18, v94, 3, 0x800
	v_lshl_or_b32 v94, v95, 3, 0x800
	;; [unrolled: 1-line block ×3, first 2 shown]
	v_mul_f32_e32 v96, v26, v5
	v_mul_f32_e32 v5, v32, v5
	;; [unrolled: 1-line block ×4, first 2 shown]
	v_lshl_or_b32 v16, v102, 3, 0x800
	v_lshl_or_b32 v99, v33, 3, 0x800
	v_fmac_f32_e32 v96, v32, v4
	v_fma_f32 v102, v26, v4, -v5
	s_clause 0x1
	global_load_dwordx2 v[32:33], v101, s[4:5]
	global_load_dwordx2 v[26:27], v105, s[4:5]
	v_fmac_f32_e32 v100, v37, v6
	v_fma_f32 v101, v41, v6, -v7
	v_mul_f32_e32 v6, v36, v21
	v_mul_f32_e32 v105, v40, v21
	;; [unrolled: 1-line block ×3, first 2 shown]
	global_load_dwordx2 v[4:5], v17, s[4:5]
	v_fmac_f32_e32 v109, v38, v22
	v_fma_f32 v110, v40, v20, -v6
	s_waitcnt vmcnt(20)
	v_mul_f32_e32 v6, v35, v43
	v_mul_f32_e32 v43, v34, v43
	v_fmac_f32_e32 v105, v36, v20
	global_load_dwordx2 v[36:37], v18, s[4:5]
	v_fma_f32 v111, v39, v22, -v7
	s_clause 0x2
	global_load_dwordx2 v[38:39], v103, s[4:5]
	global_load_dwordx2 v[40:41], v16, s[4:5]
	global_load_dwordx2 v[20:21], v95, s[4:5]
	s_waitcnt vmcnt(22)
	v_mul_f32_e32 v16, v45, v47
	v_lshl_or_b32 v19, v19, 3, 0x800
	v_fma_f32 v95, v34, v42, -v6
	v_fmac_f32_e32 v43, v35, v42
	s_clause 0x2
	global_load_dwordx2 v[22:23], v107, s[4:5]
	global_load_dwordx2 v[34:35], v94, s[4:5]
	;; [unrolled: 1-line block ×3, first 2 shown]
	v_mul_f32_e32 v42, v44, v47
	v_fma_f32 v47, v44, v46, -v16
	s_clause 0x1
	global_load_dwordx2 v[16:17], v97, s[4:5]
	global_load_dwordx2 v[18:19], v19, s[4:5]
	v_add_f32_e32 v44, v104, v109
	v_add_f32_e32 v97, v106, v105
	v_fmac_f32_e32 v42, v45, v46
	v_sub_f32_e32 v46, v104, v109
	v_add_f32_e32 v104, v96, v100
	v_sub_f32_e32 v96, v100, v96
	s_waitcnt vmcnt(25)
	v_mul_f32_e32 v100, v57, v61
	v_mul_f32_e32 v61, v56, v61
	v_add_f32_e32 v45, v108, v111
	v_add_f32_e32 v99, v98, v110
	v_sub_f32_e32 v103, v106, v105
	v_sub_f32_e32 v98, v98, v110
	v_fmac_f32_e32 v61, v57, v60
	s_waitcnt vmcnt(23)
	v_mul_f32_e32 v57, v64, v67
	v_add_f32_e32 v105, v102, v101
	v_sub_f32_e32 v101, v101, v102
	v_mul_f32_e32 v102, v65, v67
	v_fma_f32 v100, v56, v60, -v100
	s_waitcnt vmcnt(21)
	v_mul_f32_e32 v56, v59, v63
	v_mul_f32_e32 v60, v58, v63
	s_waitcnt vmcnt(19)
	v_mul_f32_e32 v63, v53, v55
	v_fmac_f32_e32 v57, v65, v66
	v_mul_f32_e32 v65, v52, v55
	v_sub_f32_e32 v94, v108, v111
	v_fma_f32 v64, v64, v66, -v102
	s_waitcnt vmcnt(17)
	v_mul_f32_e32 v55, v49, v51
	v_mul_f32_e32 v51, v48, v51
	v_add_f32_e32 v66, v97, v44
	v_fma_f32 v58, v58, v62, -v56
	v_fmac_f32_e32 v60, v59, v62
	v_add_f32_e32 v56, v99, v45
	v_sub_f32_e32 v59, v97, v44
	v_sub_f32_e32 v62, v99, v45
	;; [unrolled: 1-line block ×6, first 2 shown]
	v_fma_f32 v63, v52, v54, -v63
	v_fmac_f32_e32 v65, v53, v54
	v_add_f32_e32 v52, v101, v98
	v_sub_f32_e32 v53, v96, v103
	v_sub_f32_e32 v102, v103, v46
	v_add_f32_e32 v99, v96, v103
	v_sub_f32_e32 v54, v101, v98
	v_sub_f32_e32 v96, v46, v96
	v_sub_f32_e32 v98, v98, v94
	v_fma_f32 v103, v48, v50, -v55
	v_fmac_f32_e32 v51, v49, v50
	v_add_f32_e32 v48, v104, v66
	v_add_f32_e32 v49, v105, v56
	;; [unrolled: 1-line block ×3, first 2 shown]
	v_mul_f32_e32 v44, 0x3f4a47b2, v44
	v_mul_f32_e32 v45, 0x3f4a47b2, v45
	;; [unrolled: 1-line block ×6, first 2 shown]
	v_sub_f32_e32 v101, v94, v101
	v_add_f32_e32 v46, v99, v46
	v_mul_f32_e32 v54, 0x3f08b237, v54
	v_mul_f32_e32 v66, 0xbf5ff5aa, v98
	v_fmamk_f32 v67, v67, 0x3d64c772, v44
	v_fma_f32 v52, 0x3f3bfb3b, v59, -v52
	v_fma_f32 v44, 0xbf3bfb3b, v59, -v44
	v_fmamk_f32 v59, v97, 0x3d64c772, v45
	v_fma_f32 v94, 0x3f3bfb3b, v62, -v55
	v_fma_f32 v45, 0xbf3bfb3b, v62, -v45
	v_add_f32_e32 v62, v87, v48
	v_add_f32_e32 v55, v93, v49
	v_fma_f32 v87, 0xbf5ff5aa, v102, -v53
	v_fmamk_f32 v53, v96, 0xbeae86e6, v53
	v_fma_f32 v56, 0x3eae86e6, v96, -v56
	v_fma_f32 v93, 0xbf5ff5aa, v98, -v54
	v_fmamk_f32 v96, v101, 0xbeae86e6, v54
	v_fma_f32 v66, 0x3eae86e6, v101, -v66
	v_mul_f32_e32 v97, v62, v43
	v_mul_f32_e32 v54, v55, v43
	v_fmamk_f32 v43, v49, 0xbf955555, v55
	v_fmac_f32_e32 v53, 0xbee1c552, v46
	v_fmac_f32_e32 v87, 0xbee1c552, v46
	;; [unrolled: 1-line block ×3, first 2 shown]
	v_fmamk_f32 v46, v48, 0xbf955555, v62
	v_fmac_f32_e32 v96, 0xbee1c552, v50
	v_fmac_f32_e32 v93, 0xbee1c552, v50
	;; [unrolled: 1-line block ×3, first 2 shown]
	v_add_f32_e32 v50, v94, v43
	v_add_f32_e32 v48, v67, v46
	;; [unrolled: 1-line block ×6, first 2 shown]
	v_fma_f32 v55, v55, v95, -v97
	v_fmac_f32_e32 v54, v62, v95
	v_add_f32_e32 v45, v96, v48
	v_sub_f32_e32 v59, v49, v93
	v_add_f32_e32 v62, v93, v49
	v_add_f32_e32 v49, v87, v50
	v_sub_f32_e32 v67, v50, v87
	v_add_f32_e32 v87, v66, v44
	v_sub_f32_e32 v93, v46, v53
	v_sub_f32_e32 v66, v44, v66
	v_sub_f32_e32 v94, v43, v56
	v_add_f32_e32 v43, v56, v43
	v_sub_f32_e32 v95, v48, v96
	v_add_f32_e32 v96, v53, v46
	v_mul_f32_e32 v53, v45, v42
	v_mul_f32_e32 v56, v93, v42
	;; [unrolled: 1-line block ×12, first 2 shown]
	v_fma_f32 v57, v93, v47, -v53
	v_fmac_f32_e32 v56, v45, v47
	v_fma_f32 v53, v94, v100, -v42
	v_fmac_f32_e32 v52, v87, v100
	;; [unrolled: 2-line block ×6, first 2 shown]
	s_cbranch_vccnz .LBB0_16
; %bb.15:
	v_mad_u64_u32 v[42:43], null, s8, v69, 0
	v_mad_u64_u32 v[58:59], null, s12, v85, 0
	;; [unrolled: 1-line block ×3, first 2 shown]
	s_lshl_b64 s[4:5], s[2:3], 3
	s_add_u32 s1, s16, s4
	v_mad_u64_u32 v[62:63], null, s9, v69, v[43:44]
	v_mad_u64_u32 v[63:64], null, s12, v92, 0
	;; [unrolled: 1-line block ×3, first 2 shown]
	s_addc_u32 s4, s17, s5
	v_mov_b32_e32 v43, v62
	v_mov_b32_e32 v62, v64
	;; [unrolled: 1-line block ×3, first 2 shown]
	v_lshlrev_b64 v[42:43], 3, v[42:43]
	v_mad_u64_u32 v[64:65], null, s13, v86, v[61:62]
	v_lshlrev_b64 v[58:59], 3, v[58:59]
	v_mad_u64_u32 v[65:66], null, s13, v92, v[62:63]
	v_add_co_u32 v42, vcc_lo, s1, v42
	v_add_co_ci_u32_e32 v43, vcc_lo, s4, v43, vcc_lo
	v_mov_b32_e32 v61, v64
	v_add_co_u32 v58, vcc_lo, v42, v58
	v_add_co_ci_u32_e32 v59, vcc_lo, v43, v59, vcc_lo
	v_lshlrev_b64 v[60:61], 3, v[60:61]
	v_mov_b32_e32 v64, v65
	v_mad_u64_u32 v[66:67], null, s12, v91, 0
	global_store_dwordx2 v[58:59], v[54:55], off
	v_add_co_u32 v58, vcc_lo, v42, v60
	v_add_co_ci_u32_e32 v59, vcc_lo, v43, v61, vcc_lo
	v_lshlrev_b64 v[60:61], 3, v[63:64]
	v_mad_u64_u32 v[62:63], null, s12, v89, 0
	global_store_dwordx2 v[58:59], v[56:57], off
	v_mov_b32_e32 v58, v67
	s_and_b32 s1, s0, exec_lo
	v_add_co_u32 v59, vcc_lo, v42, v60
	v_add_co_ci_u32_e32 v60, vcc_lo, v43, v61, vcc_lo
	v_mov_b32_e32 v61, v63
	v_mad_u64_u32 v[63:64], null, s13, v91, v[58:59]
	v_mad_u64_u32 v[64:65], null, s12, v88, 0
	;; [unrolled: 1-line block ×4, first 2 shown]
	v_mov_b32_e32 v67, v63
	global_store_dwordx2 v[59:60], v[52:53], off
	v_mov_b32_e32 v58, v65
	v_mov_b32_e32 v63, v93
	v_lshlrev_b64 v[59:60], 3, v[66:67]
	v_mov_b32_e32 v61, v95
	v_lshlrev_b64 v[62:63], 3, v[62:63]
	v_mad_u64_u32 v[65:66], null, s13, v88, v[58:59]
	v_add_co_u32 v58, vcc_lo, v42, v59
	v_mad_u64_u32 v[66:67], null, s13, v90, v[61:62]
	v_add_co_ci_u32_e32 v59, vcc_lo, v43, v60, vcc_lo
	v_add_co_u32 v60, vcc_lo, v42, v62
	v_add_co_ci_u32_e32 v61, vcc_lo, v43, v63, vcc_lo
	v_mov_b32_e32 v95, v66
	global_store_dwordx2 v[58:59], v[50:51], off
	v_lshlrev_b64 v[58:59], 3, v[64:65]
	global_store_dwordx2 v[60:61], v[48:49], off
	v_lshlrev_b64 v[60:61], 3, v[94:95]
	v_add_co_u32 v58, vcc_lo, v42, v58
	v_add_co_ci_u32_e32 v59, vcc_lo, v43, v59, vcc_lo
	v_add_co_u32 v60, vcc_lo, v42, v60
	v_add_co_ci_u32_e32 v61, vcc_lo, v43, v61, vcc_lo
	global_store_dwordx2 v[58:59], v[44:45], off
	global_store_dwordx2 v[60:61], v[46:47], off
	s_cbranch_execz .LBB0_17
	s_branch .LBB0_20
.LBB0_16:
	s_mov_b32 s1, 0
                                        ; implicit-def: $vgpr42_vgpr43
.LBB0_17:
	s_mov_b32 s4, exec_lo
                                        ; implicit-def: $vgpr42_vgpr43
	v_cmpx_gt_u64_e64 s[14:15], v[24:25]
	s_cbranch_execz .LBB0_19
; %bb.18:
	v_mad_u64_u32 v[24:25], null, s8, v69, 0
	v_mad_u64_u32 v[42:43], null, s12, v85, 0
	;; [unrolled: 1-line block ×3, first 2 shown]
	s_lshl_b64 s[2:3], s[2:3], 3
	s_add_u32 s2, s16, s2
	s_waitcnt vmcnt(10)
	v_mad_u64_u32 v[60:61], null, s9, v69, v[25:26]
	v_mad_u64_u32 v[61:62], null, s12, v92, 0
	;; [unrolled: 1-line block ×3, first 2 shown]
	s_addc_u32 s3, s17, s3
	s_andn2_b32 s1, s1, exec_lo
	v_mov_b32_e32 v25, v60
	s_and_b32 s0, s0, exec_lo
	v_mov_b32_e32 v60, v62
	s_or_b32 s1, s1, s0
	v_mov_b32_e32 v43, v63
	v_lshlrev_b64 v[24:25], 3, v[24:25]
	v_mad_u64_u32 v[62:63], null, s13, v86, v[59:60]
	v_mad_u64_u32 v[63:64], null, s13, v92, v[60:61]
	v_lshlrev_b64 v[64:65], 3, v[42:43]
	v_add_co_u32 v42, vcc_lo, s2, v24
	v_add_co_ci_u32_e32 v43, vcc_lo, s3, v25, vcc_lo
	v_mov_b32_e32 v59, v62
	v_add_co_u32 v24, vcc_lo, v42, v64
	v_add_co_ci_u32_e32 v25, vcc_lo, v43, v65, vcc_lo
	v_lshlrev_b64 v[58:59], 3, v[58:59]
	v_mad_u64_u32 v[64:65], null, s12, v91, 0
	global_store_dwordx2 v[24:25], v[54:55], off
	v_mov_b32_e32 v62, v63
	v_add_co_u32 v24, vcc_lo, v42, v58
	v_add_co_ci_u32_e32 v25, vcc_lo, v43, v59, vcc_lo
	v_mad_u64_u32 v[58:59], null, s12, v89, 0
	v_lshlrev_b64 v[54:55], 3, v[61:62]
	global_store_dwordx2 v[24:25], v[56:57], off
	v_mov_b32_e32 v24, v65
	v_mad_u64_u32 v[60:61], null, s12, v88, 0
	v_mad_u64_u32 v[62:63], null, s12, v90, 0
	v_mov_b32_e32 v25, v59
	v_add_co_u32 v54, vcc_lo, v42, v54
	v_add_co_ci_u32_e32 v55, vcc_lo, v43, v55, vcc_lo
	v_mad_u64_u32 v[56:57], null, s13, v91, v[24:25]
	v_mad_u64_u32 v[24:25], null, s13, v89, v[25:26]
	v_mov_b32_e32 v25, v61
	global_store_dwordx2 v[54:55], v[52:53], off
	v_mov_b32_e32 v65, v56
	v_mad_u64_u32 v[54:55], null, s13, v88, v[25:26]
	v_mov_b32_e32 v59, v24
	v_mov_b32_e32 v24, v63
	v_lshlrev_b64 v[52:53], 3, v[64:65]
	v_lshlrev_b64 v[55:56], 3, v[58:59]
	v_mad_u64_u32 v[24:25], null, s13, v90, v[24:25]
	v_add_co_u32 v52, vcc_lo, v42, v52
	v_add_co_ci_u32_e32 v53, vcc_lo, v43, v53, vcc_lo
	v_mov_b32_e32 v61, v54
	v_add_co_u32 v54, vcc_lo, v42, v55
	v_add_co_ci_u32_e32 v55, vcc_lo, v43, v56, vcc_lo
	v_mov_b32_e32 v63, v24
	v_lshlrev_b64 v[24:25], 3, v[60:61]
	global_store_dwordx2 v[52:53], v[50:51], off
	global_store_dwordx2 v[54:55], v[48:49], off
	v_lshlrev_b64 v[48:49], 3, v[62:63]
	v_add_co_u32 v24, vcc_lo, v42, v24
	v_add_co_ci_u32_e32 v25, vcc_lo, v43, v25, vcc_lo
	v_add_co_u32 v48, vcc_lo, v42, v48
	v_add_co_ci_u32_e32 v49, vcc_lo, v43, v49, vcc_lo
	global_store_dwordx2 v[24:25], v[44:45], off
	global_store_dwordx2 v[48:49], v[46:47], off
.LBB0_19:
	s_or_b32 exec_lo, exec_lo, s4
.LBB0_20:
	s_and_saveexec_b32 s0, s1
	s_cbranch_execnz .LBB0_22
; %bb.21:
	s_endpgm
.LBB0_22:
	s_waitcnt vmcnt(16)
	v_mul_f32_e32 v24, v83, v1
	v_mul_f32_e32 v1, v76, v1
	;; [unrolled: 1-line block ×4, first 2 shown]
	s_waitcnt vmcnt(14)
	v_mul_f32_e32 v44, v79, v15
	v_fmac_f32_e32 v24, v76, v0
	v_fma_f32 v0, v83, v0, -v1
	v_mul_f32_e32 v1, v81, v13
	v_mul_f32_e32 v13, v74, v13
	v_fmac_f32_e32 v25, v73, v2
	v_fma_f32 v2, v80, v2, -v3
	v_fmac_f32_e32 v44, v72, v14
	v_fmac_f32_e32 v1, v74, v12
	v_fma_f32 v3, v81, v12, -v13
	v_mul_f32_e32 v12, v84, v11
	v_mul_f32_e32 v11, v77, v11
	v_mul_f32_e32 v13, v72, v15
	v_mul_f32_e32 v15, v82, v9
	v_mul_f32_e32 v9, v75, v9
	v_fmac_f32_e32 v12, v77, v10
	v_fma_f32 v10, v84, v10, -v11
	v_fma_f32 v11, v79, v14, -v13
	v_fmac_f32_e32 v15, v75, v8
	v_fma_f32 v8, v82, v8, -v9
	v_add_f32_e32 v9, v24, v12
	v_add_f32_e32 v13, v0, v10
	v_sub_f32_e32 v0, v0, v10
	v_add_f32_e32 v10, v25, v15
	v_add_f32_e32 v14, v2, v8
	v_sub_f32_e32 v12, v24, v12
	v_sub_f32_e32 v15, v25, v15
	;; [unrolled: 1-line block ×3, first 2 shown]
	v_add_f32_e32 v8, v1, v44
	v_add_f32_e32 v24, v3, v11
	v_sub_f32_e32 v1, v44, v1
	v_sub_f32_e32 v3, v11, v3
	v_add_f32_e32 v11, v10, v9
	v_add_f32_e32 v25, v14, v13
	v_sub_f32_e32 v44, v10, v9
	v_sub_f32_e32 v45, v14, v13
	;; [unrolled: 1-line block ×6, first 2 shown]
	v_add_f32_e32 v46, v1, v15
	v_add_f32_e32 v47, v3, v2
	v_sub_f32_e32 v48, v1, v15
	v_sub_f32_e32 v15, v15, v12
	v_add_f32_e32 v8, v8, v11
	v_add_f32_e32 v11, v24, v25
	v_sub_f32_e32 v49, v3, v2
	v_sub_f32_e32 v2, v2, v0
	;; [unrolled: 1-line block ×4, first 2 shown]
	v_add_f32_e32 v12, v46, v12
	v_add_f32_e32 v0, v47, v0
	;; [unrolled: 1-line block ×4, first 2 shown]
	v_mul_f32_e32 v9, 0x3f4a47b2, v9
	v_mul_f32_e32 v13, 0x3f4a47b2, v13
	;; [unrolled: 1-line block ×8, first 2 shown]
	v_fmamk_f32 v8, v8, 0xbf955555, v24
	v_fmamk_f32 v11, v11, 0xbf955555, v25
	v_fmamk_f32 v10, v10, 0x3d64c772, v9
	v_fmamk_f32 v14, v14, 0x3d64c772, v13
	v_fma_f32 v46, 0x3f3bfb3b, v44, -v46
	v_fma_f32 v47, 0x3f3bfb3b, v45, -v47
	;; [unrolled: 1-line block ×4, first 2 shown]
	v_fmamk_f32 v44, v1, 0xbeae86e6, v48
	v_fma_f32 v15, 0xbf5ff5aa, v15, -v48
	v_fma_f32 v1, 0x3eae86e6, v1, -v50
	v_fmamk_f32 v45, v3, 0xbeae86e6, v49
	v_fma_f32 v3, 0x3eae86e6, v3, -v51
	v_fma_f32 v2, 0xbf5ff5aa, v2, -v49
	v_add_f32_e32 v10, v10, v8
	v_add_f32_e32 v46, v46, v8
	;; [unrolled: 1-line block ×5, first 2 shown]
	v_fmac_f32_e32 v15, 0xbee1c552, v12
	v_fmac_f32_e32 v1, 0xbee1c552, v12
	s_waitcnt vmcnt(12)
	v_mul_f32_e32 v49, v28, v31
	v_fmac_f32_e32 v3, 0xbee1c552, v0
	v_fmac_f32_e32 v45, 0xbee1c552, v0
	;; [unrolled: 1-line block ×3, first 2 shown]
	v_sub_f32_e32 v48, v9, v1
	v_add_f32_e32 v51, v15, v47
	v_mul_f32_e32 v0, v29, v31
	v_fmac_f32_e32 v49, v29, v30
	v_sub_f32_e32 v29, v47, v15
	v_add_f32_e32 v47, v1, v9
	s_waitcnt vmcnt(7)
	v_mul_f32_e32 v9, v38, v37
	v_add_f32_e32 v14, v14, v11
	v_fmac_f32_e32 v44, 0xbee1c552, v12
	v_add_f32_e32 v13, v3, v8
	v_sub_f32_e32 v31, v8, v3
	s_waitcnt vmcnt(6)
	v_mul_f32_e32 v3, v32, v41
	v_add_f32_e32 v11, v45, v10
	v_fma_f32 v1, v28, v30, -v0
	v_mul_f32_e32 v0, v25, v49
	v_sub_f32_e32 v28, v10, v45
	v_mul_f32_e32 v8, v33, v41
	v_mul_f32_e32 v10, v39, v37
	v_fmac_f32_e32 v9, v39, v36
	v_sub_f32_e32 v12, v14, v44
	v_sub_f32_e32 v50, v46, v2
	v_add_f32_e32 v46, v2, v46
	v_mul_f32_e32 v2, v24, v49
	v_fmac_f32_e32 v3, v33, v40
	v_add_f32_e32 v30, v44, v14
	v_fmac_f32_e32 v0, v24, v1
	v_fma_f32 v14, v32, v40, -v8
	v_fma_f32 v15, v38, v36, -v10
	s_waitcnt vmcnt(3)
	v_mul_f32_e32 v24, v26, v35
	v_mul_f32_e32 v8, v48, v9
	v_fma_f32 v1, v25, v1, -v2
	v_mul_f32_e32 v2, v12, v3
	v_mul_f32_e32 v3, v11, v3
	;; [unrolled: 1-line block ×3, first 2 shown]
	v_fmac_f32_e32 v24, v27, v34
	v_fmac_f32_e32 v8, v13, v15
	v_mul_f32_e32 v9, v13, v9
	v_mul_f32_e32 v13, v22, v21
	v_fmac_f32_e32 v2, v11, v14
	v_fma_f32 v3, v12, v14, -v3
	v_mul_f32_e32 v14, v23, v21
	v_fma_f32 v11, v26, v34, -v10
	v_mul_f32_e32 v10, v51, v24
	v_mul_f32_e32 v12, v50, v24
	v_fmac_f32_e32 v13, v23, v20
	v_fma_f32 v9, v48, v15, -v9
	v_fma_f32 v20, v22, v20, -v14
	v_mad_u64_u32 v[14:15], null, s12, v70, 0
	v_fmac_f32_e32 v10, v50, v11
	v_fma_f32 v11, v51, v11, -v12
	v_mul_f32_e32 v12, v29, v13
	v_mul_f32_e32 v13, v46, v13
	s_waitcnt vmcnt(0)
	v_mul_f32_e32 v21, v5, v19
	v_mul_f32_e32 v22, v4, v19
	v_add_nc_u32_e32 v23, 19, v68
	v_fmac_f32_e32 v12, v46, v20
	v_fma_f32 v13, v29, v20, -v13
	v_mad_u64_u32 v[19:20], null, s13, v70, v[15:16]
	v_fmac_f32_e32 v22, v5, v18
	v_fma_f32 v24, v4, v18, -v21
	v_mad_u64_u32 v[4:5], null, s12, v23, 0
	v_mul_f32_e32 v25, v16, v7
	v_mul_f32_e32 v7, v17, v7
	v_mov_b32_e32 v15, v19
	v_mul_f32_e32 v18, v47, v22
	v_mul_f32_e32 v22, v31, v22
	v_fmac_f32_e32 v25, v17, v6
	v_mad_u64_u32 v[20:21], null, s13, v23, v[5:6]
	v_add_nc_u32_e32 v21, 31, v68
	v_lshlrev_b64 v[14:15], 3, v[14:15]
	v_fma_f32 v7, v16, v6, -v7
	v_fma_f32 v19, v47, v24, -v22
	v_mul_f32_e32 v6, v30, v25
	v_mad_u64_u32 v[16:17], null, s12, v21, 0
	v_mov_b32_e32 v5, v20
	v_add_co_u32 v14, vcc_lo, v42, v14
	v_add_co_ci_u32_e32 v15, vcc_lo, v43, v15, vcc_lo
	v_lshlrev_b64 v[4:5], 3, v[4:5]
	v_mul_f32_e32 v22, v28, v25
	v_add_nc_u32_e32 v20, 43, v68
	global_store_dwordx2 v[14:15], v[0:1], off
	v_mov_b32_e32 v0, v17
	v_fmac_f32_e32 v6, v28, v7
	v_add_co_u32 v4, vcc_lo, v42, v4
	v_fma_f32 v7, v30, v7, -v22
	v_add_co_ci_u32_e32 v5, vcc_lo, v43, v5, vcc_lo
	v_mad_u64_u32 v[0:1], null, s13, v21, v[0:1]
	v_add_nc_u32_e32 v22, 55, v68
	v_mad_u64_u32 v[14:15], null, s12, v20, 0
	v_fmac_f32_e32 v18, v31, v24
	v_add_nc_u32_e32 v24, 0x43, v68
	global_store_dwordx2 v[4:5], v[2:3], off
	v_mad_u64_u32 v[1:2], null, s12, v22, 0
	v_mov_b32_e32 v17, v0
	v_mad_u64_u32 v[3:4], null, s12, v24, 0
	v_mov_b32_e32 v0, v15
	v_add_nc_u32_e32 v25, 0x4f, v68
	v_lshlrev_b64 v[15:16], 3, v[16:17]
	v_mad_u64_u32 v[20:21], null, s13, v20, v[0:1]
	v_mad_u64_u32 v[21:22], null, s13, v22, v[2:3]
	;; [unrolled: 1-line block ×3, first 2 shown]
	v_mov_b32_e32 v0, v4
	v_add_co_u32 v4, vcc_lo, v42, v15
	v_add_co_ci_u32_e32 v5, vcc_lo, v43, v16, vcc_lo
	v_mov_b32_e32 v2, v21
	v_mad_u64_u32 v[16:17], null, s13, v24, v[0:1]
	v_mov_b32_e32 v15, v20
	v_mov_b32_e32 v0, v23
	v_lshlrev_b64 v[1:2], 3, v[1:2]
	global_store_dwordx2 v[4:5], v[8:9], off
	v_lshlrev_b64 v[8:9], 3, v[14:15]
	v_mov_b32_e32 v4, v16
	v_mad_u64_u32 v[14:15], null, s13, v25, v[0:1]
	v_add_co_u32 v8, vcc_lo, v42, v8
	v_lshlrev_b64 v[3:4], 3, v[3:4]
	v_add_co_ci_u32_e32 v9, vcc_lo, v43, v9, vcc_lo
	v_mov_b32_e32 v23, v14
	v_add_co_u32 v0, vcc_lo, v42, v1
	v_add_co_ci_u32_e32 v1, vcc_lo, v43, v2, vcc_lo
	v_lshlrev_b64 v[14:15], 3, v[22:23]
	v_add_co_u32 v2, vcc_lo, v42, v3
	v_add_co_ci_u32_e32 v3, vcc_lo, v43, v4, vcc_lo
	v_add_co_u32 v4, vcc_lo, v42, v14
	v_add_co_ci_u32_e32 v5, vcc_lo, v43, v15, vcc_lo
	global_store_dwordx2 v[8:9], v[10:11], off
	global_store_dwordx2 v[0:1], v[12:13], off
	;; [unrolled: 1-line block ×4, first 2 shown]
	s_endpgm
	.section	.rodata,"a",@progbits
	.p2align	6, 0x0
	.amdhsa_kernel fft_rtc_back_len84_factors_6_2_7_wgs_252_tpt_7_halfLds_dim2_sp_ip_CI_sbcc_twdbase8_2step_dirReg
		.amdhsa_group_segment_fixed_size 0
		.amdhsa_private_segment_fixed_size 0
		.amdhsa_kernarg_size 88
		.amdhsa_user_sgpr_count 6
		.amdhsa_user_sgpr_private_segment_buffer 1
		.amdhsa_user_sgpr_dispatch_ptr 0
		.amdhsa_user_sgpr_queue_ptr 0
		.amdhsa_user_sgpr_kernarg_segment_ptr 1
		.amdhsa_user_sgpr_dispatch_id 0
		.amdhsa_user_sgpr_flat_scratch_init 0
		.amdhsa_user_sgpr_private_segment_size 0
		.amdhsa_wavefront_size32 1
		.amdhsa_uses_dynamic_stack 0
		.amdhsa_system_sgpr_private_segment_wavefront_offset 0
		.amdhsa_system_sgpr_workgroup_id_x 1
		.amdhsa_system_sgpr_workgroup_id_y 0
		.amdhsa_system_sgpr_workgroup_id_z 0
		.amdhsa_system_sgpr_workgroup_info 0
		.amdhsa_system_vgpr_workitem_id 0
		.amdhsa_next_free_vgpr 112
		.amdhsa_next_free_sgpr 23
		.amdhsa_reserve_vcc 1
		.amdhsa_reserve_flat_scratch 0
		.amdhsa_float_round_mode_32 0
		.amdhsa_float_round_mode_16_64 0
		.amdhsa_float_denorm_mode_32 3
		.amdhsa_float_denorm_mode_16_64 3
		.amdhsa_dx10_clamp 1
		.amdhsa_ieee_mode 1
		.amdhsa_fp16_overflow 0
		.amdhsa_workgroup_processor_mode 1
		.amdhsa_memory_ordered 1
		.amdhsa_forward_progress 0
		.amdhsa_shared_vgpr_count 0
		.amdhsa_exception_fp_ieee_invalid_op 0
		.amdhsa_exception_fp_denorm_src 0
		.amdhsa_exception_fp_ieee_div_zero 0
		.amdhsa_exception_fp_ieee_overflow 0
		.amdhsa_exception_fp_ieee_underflow 0
		.amdhsa_exception_fp_ieee_inexact 0
		.amdhsa_exception_int_div_zero 0
	.end_amdhsa_kernel
	.text
.Lfunc_end0:
	.size	fft_rtc_back_len84_factors_6_2_7_wgs_252_tpt_7_halfLds_dim2_sp_ip_CI_sbcc_twdbase8_2step_dirReg, .Lfunc_end0-fft_rtc_back_len84_factors_6_2_7_wgs_252_tpt_7_halfLds_dim2_sp_ip_CI_sbcc_twdbase8_2step_dirReg
                                        ; -- End function
	.section	.AMDGPU.csdata,"",@progbits
; Kernel info:
; codeLenInByte = 8436
; NumSgprs: 25
; NumVgprs: 112
; ScratchSize: 0
; MemoryBound: 0
; FloatMode: 240
; IeeeMode: 1
; LDSByteSize: 0 bytes/workgroup (compile time only)
; SGPRBlocks: 3
; VGPRBlocks: 13
; NumSGPRsForWavesPerEU: 25
; NumVGPRsForWavesPerEU: 112
; Occupancy: 9
; WaveLimiterHint : 1
; COMPUTE_PGM_RSRC2:SCRATCH_EN: 0
; COMPUTE_PGM_RSRC2:USER_SGPR: 6
; COMPUTE_PGM_RSRC2:TRAP_HANDLER: 0
; COMPUTE_PGM_RSRC2:TGID_X_EN: 1
; COMPUTE_PGM_RSRC2:TGID_Y_EN: 0
; COMPUTE_PGM_RSRC2:TGID_Z_EN: 0
; COMPUTE_PGM_RSRC2:TIDIG_COMP_CNT: 0
	.text
	.p2alignl 6, 3214868480
	.fill 48, 4, 3214868480
	.type	__hip_cuid_d679363a9a415f22,@object ; @__hip_cuid_d679363a9a415f22
	.section	.bss,"aw",@nobits
	.globl	__hip_cuid_d679363a9a415f22
__hip_cuid_d679363a9a415f22:
	.byte	0                               ; 0x0
	.size	__hip_cuid_d679363a9a415f22, 1

	.ident	"AMD clang version 19.0.0git (https://github.com/RadeonOpenCompute/llvm-project roc-6.4.0 25133 c7fe45cf4b819c5991fe208aaa96edf142730f1d)"
	.section	".note.GNU-stack","",@progbits
	.addrsig
	.addrsig_sym __hip_cuid_d679363a9a415f22
	.amdgpu_metadata
---
amdhsa.kernels:
  - .args:
      - .actual_access:  read_only
        .address_space:  global
        .offset:         0
        .size:           8
        .value_kind:     global_buffer
      - .address_space:  global
        .offset:         8
        .size:           8
        .value_kind:     global_buffer
      - .actual_access:  read_only
        .address_space:  global
        .offset:         16
        .size:           8
        .value_kind:     global_buffer
      - .actual_access:  read_only
        .address_space:  global
        .offset:         24
        .size:           8
        .value_kind:     global_buffer
      - .offset:         32
        .size:           8
        .value_kind:     by_value
      - .actual_access:  read_only
        .address_space:  global
        .offset:         40
        .size:           8
        .value_kind:     global_buffer
      - .actual_access:  read_only
        .address_space:  global
        .offset:         48
        .size:           8
        .value_kind:     global_buffer
      - .offset:         56
        .size:           4
        .value_kind:     by_value
      - .actual_access:  read_only
        .address_space:  global
        .offset:         64
        .size:           8
        .value_kind:     global_buffer
      - .actual_access:  read_only
        .address_space:  global
        .offset:         72
        .size:           8
        .value_kind:     global_buffer
      - .address_space:  global
        .offset:         80
        .size:           8
        .value_kind:     global_buffer
    .group_segment_fixed_size: 0
    .kernarg_segment_align: 8
    .kernarg_segment_size: 88
    .language:       OpenCL C
    .language_version:
      - 2
      - 0
    .max_flat_workgroup_size: 252
    .name:           fft_rtc_back_len84_factors_6_2_7_wgs_252_tpt_7_halfLds_dim2_sp_ip_CI_sbcc_twdbase8_2step_dirReg
    .private_segment_fixed_size: 0
    .sgpr_count:     25
    .sgpr_spill_count: 0
    .symbol:         fft_rtc_back_len84_factors_6_2_7_wgs_252_tpt_7_halfLds_dim2_sp_ip_CI_sbcc_twdbase8_2step_dirReg.kd
    .uniform_work_group_size: 1
    .uses_dynamic_stack: false
    .vgpr_count:     112
    .vgpr_spill_count: 0
    .wavefront_size: 32
    .workgroup_processor_mode: 1
amdhsa.target:   amdgcn-amd-amdhsa--gfx1030
amdhsa.version:
  - 1
  - 2
...

	.end_amdgpu_metadata
